;; amdgpu-corpus repo=zjin-lcf/HeCBench kind=compiled arch=gfx1250 opt=O3
	.amdgcn_target "amdgcn-amd-amdhsa--gfx1250"
	.amdhsa_code_object_version 6
	.text
	.protected	_Z10chi_kerneljjiiPKhPf ; -- Begin function _Z10chi_kerneljjiiPKhPf
	.globl	_Z10chi_kerneljjiiPKhPf
	.p2align	8
	.type	_Z10chi_kerneljjiiPKhPf,@function
_Z10chi_kerneljjiiPKhPf:                ; @_Z10chi_kerneljjiiPKhPf
; %bb.0:
	s_clause 0x1
	s_load_b32 s2, s[0:1], 0x2c
	s_load_b96 s[4:6], s[0:1], 0x4
	s_bfe_u32 s3, ttmp6, 0x4000c
	s_and_b32 s7, ttmp6, 15
	s_add_co_i32 s3, s3, 1
	s_getreg_b32 s8, hwreg(HW_REG_IB_STS2, 6, 4)
	s_mul_i32 s3, ttmp9, s3
	s_delay_alu instid0(SALU_CYCLE_1) | instskip(SKIP_4) | instid1(SALU_CYCLE_1)
	s_add_co_i32 s7, s7, s3
	s_wait_kmcnt 0x0
	s_and_b32 s2, s2, 0xffff
	s_cmp_eq_u32 s8, 0
	s_cselect_b32 s3, ttmp9, s7
	v_mad_u32 v0, s3, s2, v0
	s_mov_b32 s2, exec_lo
	s_delay_alu instid0(VALU_DEP_1)
	v_cmpx_gt_u32_e64 s4, v0
	s_cbranch_execz .LBB0_31
; %bb.1:
	s_load_b64 s[2:3], s[0:1], 0x10
	v_ashrrev_i32_e32 v1, 31, v0
	s_cmp_lt_i32 s5, 1
	s_cbranch_scc1 .LBB0_6
; %bb.2:
	s_cmp_eq_u32 s5, 1
	s_cselect_b32 s7, -1, 0
	s_cmp_lg_u32 s4, 1
	s_cselect_b32 s8, -1, 0
	s_delay_alu instid0(SALU_CYCLE_1) | instskip(NEXT) | instid1(SALU_CYCLE_1)
	s_or_b32 s7, s7, s8
	s_and_b32 vcc_lo, exec_lo, s7
	s_cbranch_vccnz .LBB0_7
; %bb.3:
	s_wait_kmcnt 0x0
	v_add_nc_u64_e32 v[2:3], s[2:3], v[0:1]
	v_dual_mov_b32 v4, 0 :: v_dual_mov_b32 v5, 1
	v_dual_mov_b32 v6, 1 :: v_dual_mov_b32 v7, 0
	;; [unrolled: 1-line block ×3, first 2 shown]
	s_and_b32 s10, s5, 0x7ffffffe
	s_delay_alu instid0(SALU_CYCLE_1)
	s_mov_b32 s7, s10
.LBB0_4:                                ; =>This Inner Loop Header: Depth=1
	global_load_u16 v10, v[2:3], off
	s_wait_xcnt 0x0
	v_add_nc_u64_e32 v[2:3], 2, v[2:3]
	s_add_co_i32 s7, s7, -2
	s_delay_alu instid0(SALU_CYCLE_1) | instskip(SKIP_3) | instid1(VALU_DEP_2)
	s_cmp_lg_u32 s7, 0
	s_wait_loadcnt 0x0
	v_lshrrev_b16 v11, 8, v10
	v_and_b32_e32 v10, 0xff, v10
	v_cmp_eq_u16_e32 vcc_lo, 49, v11
	v_add_co_ci_u32_e64 v4, null, 0, v4, vcc_lo
	s_delay_alu instid0(VALU_DEP_3)
	v_cmp_eq_u16_e32 vcc_lo, 49, v10
	v_add_co_ci_u32_e64 v5, null, 0, v5, vcc_lo
	v_cmp_eq_u16_e32 vcc_lo, 50, v11
	v_add_co_ci_u32_e64 v7, null, 0, v7, vcc_lo
	;; [unrolled: 2-line block ×5, first 2 shown]
	s_cbranch_scc1 .LBB0_4
; %bb.5:
	s_cmp_lg_u32 s5, s10
	v_dual_add_nc_u32 v2, v5, v4 :: v_dual_add_nc_u32 v3, v6, v7
	v_add_nc_u32_e32 v8, v8, v9
	s_cselect_b32 s7, -1, 0
	s_delay_alu instid0(SALU_CYCLE_1)
	s_and_b32 vcc_lo, exec_lo, s7
	s_cbranch_vccnz .LBB0_8
	s_branch .LBB0_22
.LBB0_6:
	v_mov_b64_e32 v[2:3], 0x100000001
	v_mov_b32_e32 v8, 1
	s_branch .LBB0_22
.LBB0_7:
	v_mov_b64_e32 v[2:3], 0x100000001
	v_mov_b32_e32 v8, 1
	s_mov_b32 s10, 0
	s_cbranch_execz .LBB0_22
.LBB0_8:
	s_mov_b32 s9, 0
	s_mov_b32 s8, s4
	;; [unrolled: 1-line block ×3, first 2 shown]
	s_sub_co_i32 s7, s5, s10
	s_mul_u64 s[12:13], s[10:11], s[8:9]
	s_wait_kmcnt 0x0
	s_add_nc_u64 s[12:13], s[2:3], s[12:13]
	s_delay_alu instid0(SALU_CYCLE_1)
	v_add_nc_u64_e32 v[4:5], s[12:13], v[0:1]
	s_branch .LBB0_11
.LBB0_9:                                ;   in Loop: Header=BB0_11 Depth=1
	s_or_b32 exec_lo, exec_lo, s11
.LBB0_10:                               ;   in Loop: Header=BB0_11 Depth=1
	s_delay_alu instid0(SALU_CYCLE_1) | instskip(SKIP_2) | instid1(SALU_CYCLE_1)
	s_or_b32 exec_lo, exec_lo, s10
	v_add_nc_u64_e32 v[4:5], s[8:9], v[4:5]
	s_add_co_i32 s7, s7, -1
	s_cmp_eq_u32 s7, 0
	s_cbranch_scc1 .LBB0_22
.LBB0_11:                               ; =>This Inner Loop Header: Depth=1
	global_load_u8 v6, v[4:5], off
	s_mov_b32 s10, exec_lo
	s_wait_loadcnt 0x0
	v_cmpx_lt_i16_e32 48, v6
	s_xor_b32 s10, exec_lo, s10
	s_cbranch_execz .LBB0_19
; %bb.12:                               ;   in Loop: Header=BB0_11 Depth=1
	s_mov_b32 s11, exec_lo
	v_cmpx_lt_i16_e32 49, v6
	s_xor_b32 s11, exec_lo, s11
	s_cbranch_execz .LBB0_16
; %bb.13:                               ;   in Loop: Header=BB0_11 Depth=1
	s_mov_b32 s12, exec_lo
	v_cmpx_eq_u16_e32 50, v6
; %bb.14:                               ;   in Loop: Header=BB0_11 Depth=1
	v_add_nc_u32_e32 v3, 1, v3
; %bb.15:                               ;   in Loop: Header=BB0_11 Depth=1
	s_or_b32 exec_lo, exec_lo, s12
.LBB0_16:                               ;   in Loop: Header=BB0_11 Depth=1
	s_and_not1_saveexec_b32 s11, s11
; %bb.17:                               ;   in Loop: Header=BB0_11 Depth=1
	v_add_nc_u32_e32 v2, 1, v2
; %bb.18:                               ;   in Loop: Header=BB0_11 Depth=1
	s_or_b32 exec_lo, exec_lo, s11
                                        ; implicit-def: $vgpr6
.LBB0_19:                               ;   in Loop: Header=BB0_11 Depth=1
	s_and_not1_saveexec_b32 s10, s10
	s_cbranch_execz .LBB0_10
; %bb.20:                               ;   in Loop: Header=BB0_11 Depth=1
	s_mov_b32 s11, exec_lo
	v_cmpx_eq_u16_e32 48, v6
	s_cbranch_execz .LBB0_9
; %bb.21:                               ;   in Loop: Header=BB0_11 Depth=1
	v_add_nc_u32_e32 v8, 1, v8
	s_branch .LBB0_9
.LBB0_22:
	s_cmp_gt_i32 s6, 0
	s_mov_b32 s7, 0
	s_cbranch_scc0 .LBB0_24
; %bb.23:
	s_mov_b32 s7, -1
.LBB0_24:
	s_load_b64 s[8:9], s[0:1], 0x18
	s_and_not1_b32 vcc_lo, exec_lo, s7
	s_cbranch_vccnz .LBB0_29
; %bb.25:
	s_add_co_i32 s6, s6, s5
	s_wait_xcnt 0x0
	s_add_co_i32 s0, s5, 1
	s_delay_alu instid0(SALU_CYCLE_1) | instskip(NEXT) | instid1(SALU_CYCLE_1)
	s_max_i32 s0, s6, s0
	s_sub_co_i32 s7, s0, s5
	s_delay_alu instid0(SALU_CYCLE_1) | instskip(SKIP_3) | instid1(SALU_CYCLE_1)
	s_cmp_lt_u32 s7, 2
	s_cselect_b32 s0, -1, 0
	s_cmp_lg_u32 s4, 1
	s_cselect_b32 s1, -1, 0
	s_or_b32 s0, s0, s1
	s_delay_alu instid0(SALU_CYCLE_1)
	s_and_b32 vcc_lo, exec_lo, s0
	s_cbranch_vccnz .LBB0_32
; %bb.26:
	s_wait_kmcnt 0x0
	v_add_nc_u64_e32 v[4:5], s[2:3], v[0:1]
	v_dual_mov_b32 v6, 0 :: v_dual_mov_b32 v7, 1
	v_dual_mov_b32 v9, 1 :: v_dual_mov_b32 v10, 0
	;; [unrolled: 1-line block ×3, first 2 shown]
	s_and_b32 s10, s7, -2
	s_mov_b32 s0, s5
	s_mov_b32 s11, s10
.LBB0_27:                               ; =>This Inner Loop Header: Depth=1
	s_ashr_i32 s1, s0, 31
	s_add_co_i32 s11, s11, -2
	v_add_nc_u64_e32 v[14:15], s[0:1], v[4:5]
	s_add_co_i32 s0, s0, 2
	s_cmp_lg_u32 s11, 0
	global_load_u16 v13, v[14:15], off
	s_wait_loadcnt 0x0
	v_lshrrev_b16 v14, 8, v13
	v_and_b32_e32 v13, 0xff, v13
	s_delay_alu instid0(VALU_DEP_2) | instskip(SKIP_1) | instid1(VALU_DEP_3)
	v_cmp_eq_u16_e32 vcc_lo, 49, v14
	v_add_co_ci_u32_e64 v6, null, 0, v6, vcc_lo
	v_cmp_eq_u16_e32 vcc_lo, 49, v13
	v_add_co_ci_u32_e64 v7, null, 0, v7, vcc_lo
	;; [unrolled: 2-line block ×6, first 2 shown]
	s_cbranch_scc1 .LBB0_27
; %bb.28:
	s_add_co_i32 s5, s5, s10
	s_cmp_lg_u32 s7, s10
	v_add_nc_u32_e32 v4, v7, v6
	v_dual_add_nc_u32 v5, v9, v10 :: v_dual_add_nc_u32 v9, v11, v12
	s_cselect_b32 s0, -1, 0
	s_delay_alu instid0(SALU_CYCLE_1)
	s_and_b32 vcc_lo, exec_lo, s0
	s_cbranch_vccz .LBB0_30
	s_branch .LBB0_33
.LBB0_29:
	v_mov_b64_e32 v[4:5], 0x100000001
	v_mov_b32_e32 v9, 1
.LBB0_30:
	s_delay_alu instid0(VALU_DEP_1) | instskip(SKIP_3) | instid1(VALU_DEP_4)
	v_dual_add_nc_u32 v10, v8, v2 :: v_dual_add_nc_u32 v11, v9, v4
	v_cvt_f32_i32_e32 v7, v9
	v_cvt_f32_i32_e32 v6, v8
	;; [unrolled: 1-line block ×3, first 2 shown]
	v_add3_u32 v9, v10, v3, 1
	v_add3_u32 v10, v11, v5, 1
	v_cvt_f32_i32_e32 v5, v5
	v_add_f32_e32 v8, v6, v7
	s_wait_kmcnt 0x0
	v_lshl_add_u64 v[0:1], v[0:1], 2, s[8:9]
	v_cvt_f32_i32_e32 v14, v9
	v_add_nc_u32_e32 v11, v10, v9
	v_cvt_f32_i32_e32 v15, v10
	s_delay_alu instid0(VALU_DEP_2) | instskip(NEXT) | instid1(VALU_DEP_2)
	v_cvt_f32_i32_e32 v16, v11
	v_pk_mul_f32 v[10:11], v[8:9], v[14:15] op_sel_hi:[0,1]
	v_cvt_f32_i32_e32 v9, v3
	v_cvt_f32_i32_e32 v8, v2
	s_delay_alu instid0(VALU_DEP_3) | instskip(NEXT) | instid1(VALU_DEP_4)
	v_div_scale_f32 v17, null, v16, v16, v11
	v_div_scale_f32 v18, null, v16, v16, v10
	v_div_scale_f32 v21, vcc_lo, v11, v16, v11
	s_delay_alu instid0(VALU_DEP_3) | instskip(NEXT) | instid1(VALU_DEP_2)
	v_rcp_f32_e32 v19, v17
	v_rcp_f32_e32 v20, v18
	v_pk_add_f32 v[2:3], v[8:9], v[4:5]
	v_div_scale_f32 v22, s0, v10, v16, v10
	s_delay_alu instid0(TRANS32_DEP_2) | instskip(NEXT) | instid1(TRANS32_DEP_1)
	v_fma_f32 v12, -v17, v19, 1.0
	v_fma_f32 v13, -v18, v20, 1.0
	s_delay_alu instid0(VALU_DEP_1) | instskip(SKIP_1) | instid1(VALU_DEP_2)
	v_dual_fmac_f32 v19, v12, v19 :: v_dual_fmac_f32 v20, v13, v20
	v_pk_mul_f32 v[12:13], v[2:3], v[14:15] op_sel_hi:[1,0]
	v_dual_mul_f32 v23, v21, v19 :: v_dual_mul_f32 v24, v22, v20
	v_mov_b32_e32 v14, v15
	s_delay_alu instid0(VALU_DEP_3) | instskip(NEXT) | instid1(VALU_DEP_3)
	v_div_scale_f32 v25, null, v16, v16, v13
	v_dual_fma_f32 v15, -v17, v23, v21 :: v_dual_fma_f32 v26, -v18, v24, v22
	v_div_scale_f32 v28, null, v16, v16, v12
	v_div_scale_f32 v27, s1, v13, v16, v13
	s_delay_alu instid0(VALU_DEP_3) | instskip(SKIP_2) | instid1(VALU_DEP_3)
	v_dual_fmac_f32 v23, v15, v19 :: v_dual_fmac_f32 v24, v26, v20
	v_pk_mul_f32 v[14:15], v[2:3], v[14:15] op_sel_hi:[1,0]
	v_div_scale_f32 v26, s2, v12, v16, v12
	v_fma_f32 v2, -v17, v23, v21
	v_rcp_f32_e32 v17, v25
	s_delay_alu instid0(VALU_DEP_1) | instskip(SKIP_2) | instid1(TRANS32_DEP_2)
	v_div_fmas_f32 v2, v2, v19, v23
	s_mov_b32 vcc_lo, s0
	v_rcp_f32_e32 v19, v28
	v_fma_f32 v21, -v25, v17, 1.0
	s_delay_alu instid0(VALU_DEP_1) | instskip(NEXT) | instid1(VALU_DEP_1)
	v_dual_fma_f32 v3, -v18, v24, v22 :: v_dual_fmac_f32 v17, v21, v17
	v_div_fmas_f32 v18, v3, v20, v24
	v_div_fixup_f32 v3, v2, v16, v11
	v_div_scale_f32 v20, null, v16, v16, v15
	v_div_scale_f32 v11, null, v16, v16, v14
	s_delay_alu instid0(VALU_DEP_4) | instskip(SKIP_1) | instid1(VALU_DEP_4)
	v_div_fixup_f32 v2, v18, v16, v10
	v_fma_f32 v22, -v28, v19, 1.0
	v_rcp_f32_e32 v23, v20
	s_delay_alu instid0(VALU_DEP_3) | instskip(SKIP_4) | instid1(TRANS32_DEP_2)
	v_rcp_f32_e32 v24, v11
	v_mul_f32_e32 v32, v27, v17
	v_pk_add_f32 v[6:7], v[6:7], v[2:3] neg_lo:[0,1] neg_hi:[0,1]
	v_fmac_f32_e32 v19, v22, v19
	v_div_scale_f32 v10, s0, v15, v16, v15
	v_fma_f32 v29, -v20, v23, 1.0
	s_delay_alu instid0(VALU_DEP_4) | instskip(SKIP_3) | instid1(VALU_DEP_4)
	v_pk_mul_f32 v[6:7], v[6:7], v[6:7]
	v_fma_f32 v30, -v11, v24, 1.0
	v_mul_f32_e32 v34, v26, v19
	v_div_scale_f32 v18, s3, v14, v16, v14
	v_div_scale_f32 v21, null, v3, v3, v7
	v_div_scale_f32 v22, null, v2, v2, v6
	v_dual_fmac_f32 v23, v29, v23 :: v_dual_fmac_f32 v24, v30, v24
	s_delay_alu instid0(VALU_DEP_3) | instskip(NEXT) | instid1(VALU_DEP_2)
	v_rcp_f32_e32 v31, v21
	v_rcp_f32_e32 v33, v22
	v_fma_f32 v29, -v25, v32, v27
	v_div_scale_f32 v37, vcc_lo, v7, v3, v7
	s_delay_alu instid0(TRANS32_DEP_2) | instskip(NEXT) | instid1(TRANS32_DEP_1)
	v_fma_f32 v30, -v21, v31, 1.0
	v_fma_f32 v36, -v22, v33, 1.0
	s_delay_alu instid0(VALU_DEP_2) | instskip(SKIP_1) | instid1(VALU_DEP_3)
	v_dual_fma_f32 v35, -v28, v34, v26 :: v_dual_fmac_f32 v31, v30, v31
	v_div_scale_f32 v30, s4, v6, v2, v6
	v_dual_fmac_f32 v33, v36, v33 :: v_dual_mul_f32 v36, v10, v23
	s_delay_alu instid0(VALU_DEP_3) | instskip(NEXT) | instid1(VALU_DEP_4)
	v_dual_mul_f32 v38, v18, v24 :: v_dual_mul_f32 v39, v37, v31
	v_dual_fmac_f32 v32, v29, v17 :: v_dual_fmac_f32 v34, v35, v19
	s_delay_alu instid0(VALU_DEP_3) | instskip(NEXT) | instid1(VALU_DEP_3)
	v_dual_mul_f32 v29, v30, v33 :: v_dual_fma_f32 v35, -v20, v36, v10
	v_dual_fma_f32 v40, -v21, v39, v37 :: v_dual_fma_f32 v41, -v11, v38, v18
	s_delay_alu instid0(VALU_DEP_2) | instskip(NEXT) | instid1(VALU_DEP_3)
	v_dual_fma_f32 v25, -v25, v32, v27 :: v_dual_fma_f32 v42, -v22, v29, v30
	v_fmac_f32_e32 v36, v35, v23
	s_delay_alu instid0(VALU_DEP_3) | instskip(NEXT) | instid1(VALU_DEP_3)
	v_dual_fmac_f32 v39, v40, v31 :: v_dual_fmac_f32 v38, v41, v24
	v_dual_fmac_f32 v29, v42, v33 :: v_dual_fma_f32 v26, -v28, v34, v26
	s_delay_alu instid0(VALU_DEP_2) | instskip(NEXT) | instid1(VALU_DEP_3)
	v_dual_fma_f32 v10, -v20, v36, v10 :: v_dual_fma_f32 v20, -v21, v39, v37
	v_fma_f32 v11, -v11, v38, v18
	s_delay_alu instid0(VALU_DEP_3) | instskip(NEXT) | instid1(VALU_DEP_3)
	v_fma_f32 v18, -v22, v29, v30
	v_div_fmas_f32 v20, v20, v31, v39
	s_mov_b32 vcc_lo, s4
	s_delay_alu instid0(VALU_DEP_2) | instskip(SKIP_1) | instid1(VALU_DEP_2)
	v_div_fmas_f32 v18, v18, v33, v29
	s_mov_b32 vcc_lo, s1
	v_div_fixup_f32 v3, v20, v3, v7
	v_div_fmas_f32 v17, v25, v17, v32
	s_mov_b32 vcc_lo, s2
	v_div_fixup_f32 v2, v18, v2, v6
	v_div_fmas_f32 v19, v26, v19, v34
	s_mov_b32 vcc_lo, s0
	v_div_fmas_f32 v21, v10, v23, v36
	s_mov_b32 vcc_lo, s3
	s_delay_alu instid0(VALU_DEP_2) | instskip(SKIP_3) | instid1(VALU_DEP_3)
	v_div_fixup_f32 v10, v19, v16, v12
	v_div_fmas_f32 v22, v11, v24, v38
	v_div_fixup_f32 v11, v17, v16, v13
	v_div_fixup_f32 v13, v21, v16, v15
	v_div_fixup_f32 v12, v22, v16, v14
	s_delay_alu instid0(VALU_DEP_3) | instskip(NEXT) | instid1(VALU_DEP_2)
	v_pk_add_f32 v[8:9], v[8:9], v[10:11] neg_lo:[0,1] neg_hi:[0,1]
	v_pk_add_f32 v[4:5], v[4:5], v[12:13] neg_lo:[0,1] neg_hi:[0,1]
	s_delay_alu instid0(VALU_DEP_2) | instskip(NEXT) | instid1(VALU_DEP_2)
	v_pk_mul_f32 v[8:9], v[8:9], v[8:9]
	v_pk_mul_f32 v[4:5], v[4:5], v[4:5]
	s_delay_alu instid0(VALU_DEP_2) | instskip(NEXT) | instid1(VALU_DEP_3)
	v_div_scale_f32 v14, null, v11, v11, v9
	v_div_scale_f32 v15, null, v10, v10, v8
	s_delay_alu instid0(VALU_DEP_3) | instskip(NEXT) | instid1(VALU_DEP_4)
	v_div_scale_f32 v16, null, v13, v13, v5
	v_div_scale_f32 v17, null, v12, v12, v4
	s_delay_alu instid0(VALU_DEP_4) | instskip(NEXT) | instid1(VALU_DEP_3)
	v_rcp_f32_e32 v21, v14
	v_rcp_f32_e32 v22, v15
	s_delay_alu instid0(VALU_DEP_2) | instskip(NEXT) | instid1(VALU_DEP_1)
	v_rcp_f32_e32 v23, v16
	v_rcp_f32_e32 v24, v17
	v_div_scale_f32 v19, vcc_lo, v9, v11, v9
	v_div_scale_f32 v25, s0, v8, v10, v8
	v_fma_f32 v27, -v14, v21, 1.0
	s_delay_alu instid0(TRANS32_DEP_3) | instskip(NEXT) | instid1(TRANS32_DEP_2)
	v_fma_f32 v28, -v15, v22, 1.0
	v_fma_f32 v29, -v16, v23, 1.0
	s_delay_alu instid0(TRANS32_DEP_1) | instskip(SKIP_1) | instid1(VALU_DEP_4)
	v_fma_f32 v30, -v17, v24, 1.0
	v_div_scale_f32 v26, s1, v5, v13, v5
	v_dual_fmac_f32 v21, v27, v21 :: v_dual_fmac_f32 v22, v28, v22
	s_delay_alu instid0(VALU_DEP_3) | instskip(SKIP_1) | instid1(VALU_DEP_3)
	v_dual_fmac_f32 v24, v30, v24 :: v_dual_fmac_f32 v23, v29, v23
	v_div_scale_f32 v31, s2, v4, v12, v4
	v_dual_mul_f32 v27, v19, v21 :: v_dual_mul_f32 v28, v25, v22
	s_delay_alu instid0(VALU_DEP_2) | instskip(NEXT) | instid1(VALU_DEP_2)
	v_dual_mul_f32 v29, v26, v23 :: v_dual_mul_f32 v30, v31, v24
	v_dual_fma_f32 v32, -v14, v27, v19 :: v_dual_fma_f32 v33, -v15, v28, v25
	s_delay_alu instid0(VALU_DEP_2) | instskip(NEXT) | instid1(VALU_DEP_2)
	v_dual_fma_f32 v34, -v16, v29, v26 :: v_dual_fma_f32 v35, -v17, v30, v31
	v_dual_fmac_f32 v27, v32, v21 :: v_dual_fmac_f32 v28, v33, v22
	s_delay_alu instid0(VALU_DEP_2) | instskip(NEXT) | instid1(VALU_DEP_2)
	v_dual_fmac_f32 v29, v34, v23 :: v_dual_fmac_f32 v30, v35, v24
	v_dual_fma_f32 v6, -v14, v27, v19 :: v_dual_fma_f32 v7, -v15, v28, v25
	s_delay_alu instid0(VALU_DEP_2) | instskip(SKIP_1) | instid1(VALU_DEP_3)
	v_dual_fma_f32 v14, -v16, v29, v26 :: v_dual_fma_f32 v15, -v17, v30, v31
	v_add_f32_e32 v16, v2, v3
	v_div_fmas_f32 v6, v6, v21, v27
	s_mov_b32 vcc_lo, s0
	v_div_fmas_f32 v7, v7, v22, v28
	s_mov_b32 vcc_lo, s1
	s_delay_alu instid0(VALU_DEP_2) | instskip(SKIP_4) | instid1(VALU_DEP_3)
	v_div_fixup_f32 v3, v6, v11, v9
	v_div_fmas_f32 v14, v14, v23, v29
	s_mov_b32 vcc_lo, s2
	v_div_fixup_f32 v2, v7, v10, v8
	v_div_fmas_f32 v15, v15, v24, v30
	v_div_fixup_f32 v5, v14, v13, v5
	s_delay_alu instid0(VALU_DEP_2) | instskip(NEXT) | instid1(VALU_DEP_1)
	v_div_fixup_f32 v4, v15, v12, v4
	v_pk_add_f32 v[2:3], v[2:3], v[4:5]
	v_add_f32_e32 v6, 0, v16
	s_delay_alu instid0(VALU_DEP_1) | instskip(NEXT) | instid1(VALU_DEP_1)
	v_add_f32_e32 v2, v6, v2
	v_add_f32_e32 v2, v2, v3
	global_store_b32 v[0:1], v2, off
.LBB0_31:
	s_endpgm
.LBB0_32:
	v_mov_b64_e32 v[4:5], 0x100000001
	v_mov_b32_e32 v9, 1
	s_cbranch_execz .LBB0_30
.LBB0_33:
	s_mov_b32 s1, 0
	s_mov_b32 s0, s4
	s_ashr_i32 s11, s5, 31
	s_mov_b32 s10, s5
	s_delay_alu instid0(SALU_CYCLE_1) | instskip(SKIP_2) | instid1(SALU_CYCLE_1)
	s_mul_u64 s[10:11], s[10:11], s[0:1]
	s_wait_kmcnt 0x0
	s_add_nc_u64 s[2:3], s[2:3], s[10:11]
	v_add_nc_u64_e32 v[6:7], s[2:3], v[0:1]
	s_branch .LBB0_36
.LBB0_34:                               ;   in Loop: Header=BB0_36 Depth=1
	s_or_b32 exec_lo, exec_lo, s3
.LBB0_35:                               ;   in Loop: Header=BB0_36 Depth=1
	s_delay_alu instid0(SALU_CYCLE_1) | instskip(SKIP_2) | instid1(SALU_CYCLE_1)
	s_or_b32 exec_lo, exec_lo, s2
	v_add_nc_u64_e32 v[6:7], s[0:1], v[6:7]
	s_add_co_i32 s5, s5, 1
	s_cmp_ge_i32 s5, s6
	s_cbranch_scc1 .LBB0_30
.LBB0_36:                               ; =>This Inner Loop Header: Depth=1
	global_load_u8 v10, v[6:7], off
	s_mov_b32 s2, exec_lo
	s_wait_loadcnt 0x0
	v_cmpx_lt_i16_e32 48, v10
	s_xor_b32 s2, exec_lo, s2
	s_cbranch_execz .LBB0_44
; %bb.37:                               ;   in Loop: Header=BB0_36 Depth=1
	s_mov_b32 s3, exec_lo
	v_cmpx_lt_i16_e32 49, v10
	s_xor_b32 s3, exec_lo, s3
	s_cbranch_execz .LBB0_41
; %bb.38:                               ;   in Loop: Header=BB0_36 Depth=1
	s_mov_b32 s4, exec_lo
	v_cmpx_eq_u16_e32 50, v10
; %bb.39:                               ;   in Loop: Header=BB0_36 Depth=1
	v_add_nc_u32_e32 v5, 1, v5
; %bb.40:                               ;   in Loop: Header=BB0_36 Depth=1
	s_or_b32 exec_lo, exec_lo, s4
.LBB0_41:                               ;   in Loop: Header=BB0_36 Depth=1
	s_and_not1_saveexec_b32 s3, s3
; %bb.42:                               ;   in Loop: Header=BB0_36 Depth=1
	v_add_nc_u32_e32 v4, 1, v4
; %bb.43:                               ;   in Loop: Header=BB0_36 Depth=1
	s_or_b32 exec_lo, exec_lo, s3
                                        ; implicit-def: $vgpr10
.LBB0_44:                               ;   in Loop: Header=BB0_36 Depth=1
	s_and_not1_saveexec_b32 s2, s2
	s_cbranch_execz .LBB0_35
; %bb.45:                               ;   in Loop: Header=BB0_36 Depth=1
	s_mov_b32 s3, exec_lo
	v_cmpx_eq_u16_e32 48, v10
	s_cbranch_execz .LBB0_34
; %bb.46:                               ;   in Loop: Header=BB0_36 Depth=1
	v_add_nc_u32_e32 v9, 1, v9
	s_branch .LBB0_34
	.section	.rodata,"a",@progbits
	.p2align	6, 0x0
	.amdhsa_kernel _Z10chi_kerneljjiiPKhPf
		.amdhsa_group_segment_fixed_size 0
		.amdhsa_private_segment_fixed_size 0
		.amdhsa_kernarg_size 288
		.amdhsa_user_sgpr_count 2
		.amdhsa_user_sgpr_dispatch_ptr 0
		.amdhsa_user_sgpr_queue_ptr 0
		.amdhsa_user_sgpr_kernarg_segment_ptr 1
		.amdhsa_user_sgpr_dispatch_id 0
		.amdhsa_user_sgpr_kernarg_preload_length 0
		.amdhsa_user_sgpr_kernarg_preload_offset 0
		.amdhsa_user_sgpr_private_segment_size 0
		.amdhsa_wavefront_size32 1
		.amdhsa_uses_dynamic_stack 0
		.amdhsa_enable_private_segment 0
		.amdhsa_system_sgpr_workgroup_id_x 1
		.amdhsa_system_sgpr_workgroup_id_y 0
		.amdhsa_system_sgpr_workgroup_id_z 0
		.amdhsa_system_sgpr_workgroup_info 0
		.amdhsa_system_vgpr_workitem_id 0
		.amdhsa_next_free_vgpr 43
		.amdhsa_next_free_sgpr 14
		.amdhsa_named_barrier_count 0
		.amdhsa_reserve_vcc 1
		.amdhsa_float_round_mode_32 0
		.amdhsa_float_round_mode_16_64 0
		.amdhsa_float_denorm_mode_32 3
		.amdhsa_float_denorm_mode_16_64 3
		.amdhsa_fp16_overflow 0
		.amdhsa_memory_ordered 1
		.amdhsa_forward_progress 1
		.amdhsa_inst_pref_size 19
		.amdhsa_round_robin_scheduling 0
		.amdhsa_exception_fp_ieee_invalid_op 0
		.amdhsa_exception_fp_denorm_src 0
		.amdhsa_exception_fp_ieee_div_zero 0
		.amdhsa_exception_fp_ieee_overflow 0
		.amdhsa_exception_fp_ieee_underflow 0
		.amdhsa_exception_fp_ieee_inexact 0
		.amdhsa_exception_int_div_zero 0
	.end_amdhsa_kernel
	.text
.Lfunc_end0:
	.size	_Z10chi_kerneljjiiPKhPf, .Lfunc_end0-_Z10chi_kerneljjiiPKhPf
                                        ; -- End function
	.set _Z10chi_kerneljjiiPKhPf.num_vgpr, 43
	.set _Z10chi_kerneljjiiPKhPf.num_agpr, 0
	.set _Z10chi_kerneljjiiPKhPf.numbered_sgpr, 14
	.set _Z10chi_kerneljjiiPKhPf.num_named_barrier, 0
	.set _Z10chi_kerneljjiiPKhPf.private_seg_size, 0
	.set _Z10chi_kerneljjiiPKhPf.uses_vcc, 1
	.set _Z10chi_kerneljjiiPKhPf.uses_flat_scratch, 0
	.set _Z10chi_kerneljjiiPKhPf.has_dyn_sized_stack, 0
	.set _Z10chi_kerneljjiiPKhPf.has_recursion, 0
	.set _Z10chi_kerneljjiiPKhPf.has_indirect_call, 0
	.section	.AMDGPU.csdata,"",@progbits
; Kernel info:
; codeLenInByte = 2348
; TotalNumSgprs: 16
; NumVgprs: 43
; ScratchSize: 0
; MemoryBound: 0
; FloatMode: 240
; IeeeMode: 1
; LDSByteSize: 0 bytes/workgroup (compile time only)
; SGPRBlocks: 0
; VGPRBlocks: 2
; NumSGPRsForWavesPerEU: 16
; NumVGPRsForWavesPerEU: 43
; NamedBarCnt: 0
; Occupancy: 16
; WaveLimiterHint : 0
; COMPUTE_PGM_RSRC2:SCRATCH_EN: 0
; COMPUTE_PGM_RSRC2:USER_SGPR: 2
; COMPUTE_PGM_RSRC2:TRAP_HANDLER: 0
; COMPUTE_PGM_RSRC2:TGID_X_EN: 1
; COMPUTE_PGM_RSRC2:TGID_Y_EN: 0
; COMPUTE_PGM_RSRC2:TGID_Z_EN: 0
; COMPUTE_PGM_RSRC2:TIDIG_COMP_CNT: 0
	.text
	.p2alignl 7, 3214868480
	.fill 96, 4, 3214868480
	.section	.AMDGPU.gpr_maximums,"",@progbits
	.set amdgpu.max_num_vgpr, 0
	.set amdgpu.max_num_agpr, 0
	.set amdgpu.max_num_sgpr, 0
	.text
	.type	__hip_cuid_6bb177bec74984c,@object ; @__hip_cuid_6bb177bec74984c
	.section	.bss,"aw",@nobits
	.globl	__hip_cuid_6bb177bec74984c
__hip_cuid_6bb177bec74984c:
	.byte	0                               ; 0x0
	.size	__hip_cuid_6bb177bec74984c, 1

	.ident	"AMD clang version 22.0.0git (https://github.com/RadeonOpenCompute/llvm-project roc-7.2.4 26084 f58b06dce1f9c15707c5f808fd002e18c2accf7e)"
	.section	".note.GNU-stack","",@progbits
	.addrsig
	.addrsig_sym __hip_cuid_6bb177bec74984c
	.amdgpu_metadata
---
amdhsa.kernels:
  - .args:
      - .offset:         0
        .size:           4
        .value_kind:     by_value
      - .offset:         4
        .size:           4
        .value_kind:     by_value
      - .offset:         8
        .size:           4
        .value_kind:     by_value
      - .offset:         12
        .size:           4
        .value_kind:     by_value
      - .actual_access:  read_only
        .address_space:  global
        .offset:         16
        .size:           8
        .value_kind:     global_buffer
      - .actual_access:  write_only
        .address_space:  global
        .offset:         24
        .size:           8
        .value_kind:     global_buffer
      - .offset:         32
        .size:           4
        .value_kind:     hidden_block_count_x
      - .offset:         36
        .size:           4
        .value_kind:     hidden_block_count_y
      - .offset:         40
        .size:           4
        .value_kind:     hidden_block_count_z
      - .offset:         44
        .size:           2
        .value_kind:     hidden_group_size_x
      - .offset:         46
        .size:           2
        .value_kind:     hidden_group_size_y
      - .offset:         48
        .size:           2
        .value_kind:     hidden_group_size_z
      - .offset:         50
        .size:           2
        .value_kind:     hidden_remainder_x
      - .offset:         52
        .size:           2
        .value_kind:     hidden_remainder_y
      - .offset:         54
        .size:           2
        .value_kind:     hidden_remainder_z
      - .offset:         72
        .size:           8
        .value_kind:     hidden_global_offset_x
      - .offset:         80
        .size:           8
        .value_kind:     hidden_global_offset_y
      - .offset:         88
        .size:           8
        .value_kind:     hidden_global_offset_z
      - .offset:         96
        .size:           2
        .value_kind:     hidden_grid_dims
    .group_segment_fixed_size: 0
    .kernarg_segment_align: 8
    .kernarg_segment_size: 288
    .language:       OpenCL C
    .language_version:
      - 2
      - 0
    .max_flat_workgroup_size: 1024
    .name:           _Z10chi_kerneljjiiPKhPf
    .private_segment_fixed_size: 0
    .sgpr_count:     16
    .sgpr_spill_count: 0
    .symbol:         _Z10chi_kerneljjiiPKhPf.kd
    .uniform_work_group_size: 1
    .uses_dynamic_stack: false
    .vgpr_count:     43
    .vgpr_spill_count: 0
    .wavefront_size: 32
amdhsa.target:   amdgcn-amd-amdhsa--gfx1250
amdhsa.version:
  - 1
  - 2
...

	.end_amdgpu_metadata
